;; amdgpu-corpus repo=ROCm/rocFFT kind=compiled arch=gfx1201 opt=O3
	.text
	.amdgcn_target "amdgcn-amd-amdhsa--gfx1201"
	.amdhsa_code_object_version 6
	.protected	fft_rtc_back_len144_factors_6_6_4_wgs_120_tpt_12_halfLds_dp_op_CI_CI_unitstride_sbrr_C2R_dirReg ; -- Begin function fft_rtc_back_len144_factors_6_6_4_wgs_120_tpt_12_halfLds_dp_op_CI_CI_unitstride_sbrr_C2R_dirReg
	.globl	fft_rtc_back_len144_factors_6_6_4_wgs_120_tpt_12_halfLds_dp_op_CI_CI_unitstride_sbrr_C2R_dirReg
	.p2align	8
	.type	fft_rtc_back_len144_factors_6_6_4_wgs_120_tpt_12_halfLds_dp_op_CI_CI_unitstride_sbrr_C2R_dirReg,@function
fft_rtc_back_len144_factors_6_6_4_wgs_120_tpt_12_halfLds_dp_op_CI_CI_unitstride_sbrr_C2R_dirReg: ; @fft_rtc_back_len144_factors_6_6_4_wgs_120_tpt_12_halfLds_dp_op_CI_CI_unitstride_sbrr_C2R_dirReg
; %bb.0:
	s_load_b128 s[8:11], s[0:1], 0x0
	v_mul_u32_u24_e32 v1, 0x1556, v0
	s_clause 0x1
	s_load_b128 s[4:7], s[0:1], 0x58
	s_load_b128 s[12:15], s[0:1], 0x18
	v_mov_b32_e32 v10, 0
	v_lshrrev_b32_e32 v3, 16, v1
	v_mov_b32_e32 v1, 0
	v_mov_b32_e32 v2, 0
	s_delay_alu instid0(VALU_DEP_3) | instskip(SKIP_1) | instid1(VALU_DEP_3)
	v_mad_co_u64_u32 v[6:7], null, ttmp9, 10, v[3:4]
	v_mov_b32_e32 v7, v10
	v_dual_mov_b32 v5, v2 :: v_dual_mov_b32 v4, v1
	s_delay_alu instid0(VALU_DEP_2) | instskip(SKIP_2) | instid1(VALU_DEP_1)
	v_dual_mov_b32 v9, v7 :: v_dual_mov_b32 v8, v6
	s_wait_kmcnt 0x0
	v_cmp_lt_u64_e64 s2, s[10:11], 2
	s_and_b32 vcc_lo, exec_lo, s2
	s_cbranch_vccnz .LBB0_8
; %bb.1:
	s_load_b64 s[2:3], s[0:1], 0x10
	v_mov_b32_e32 v1, 0
	v_dual_mov_b32 v2, 0 :: v_dual_mov_b32 v13, v7
	v_mov_b32_e32 v12, v6
	s_add_nc_u64 s[16:17], s[14:15], 8
	s_add_nc_u64 s[18:19], s[12:13], 8
	s_delay_alu instid0(VALU_DEP_2)
	v_dual_mov_b32 v5, v2 :: v_dual_mov_b32 v4, v1
	s_mov_b64 s[20:21], 1
	s_wait_kmcnt 0x0
	s_add_nc_u64 s[22:23], s[2:3], 8
	s_mov_b32 s3, 0
.LBB0_2:                                ; =>This Inner Loop Header: Depth=1
	s_load_b64 s[24:25], s[22:23], 0x0
                                        ; implicit-def: $vgpr8_vgpr9
	s_mov_b32 s2, exec_lo
	s_wait_kmcnt 0x0
	v_or_b32_e32 v11, s25, v13
	s_delay_alu instid0(VALU_DEP_1)
	v_cmpx_ne_u64_e32 0, v[10:11]
	s_wait_alu 0xfffe
	s_xor_b32 s26, exec_lo, s2
	s_cbranch_execz .LBB0_4
; %bb.3:                                ;   in Loop: Header=BB0_2 Depth=1
	s_cvt_f32_u32 s2, s24
	s_cvt_f32_u32 s27, s25
	s_sub_nc_u64 s[30:31], 0, s[24:25]
	s_wait_alu 0xfffe
	s_delay_alu instid0(SALU_CYCLE_1) | instskip(SKIP_1) | instid1(SALU_CYCLE_2)
	s_fmamk_f32 s2, s27, 0x4f800000, s2
	s_wait_alu 0xfffe
	v_s_rcp_f32 s2, s2
	s_delay_alu instid0(TRANS32_DEP_1) | instskip(SKIP_1) | instid1(SALU_CYCLE_2)
	s_mul_f32 s2, s2, 0x5f7ffffc
	s_wait_alu 0xfffe
	s_mul_f32 s27, s2, 0x2f800000
	s_wait_alu 0xfffe
	s_delay_alu instid0(SALU_CYCLE_2) | instskip(SKIP_1) | instid1(SALU_CYCLE_2)
	s_trunc_f32 s27, s27
	s_wait_alu 0xfffe
	s_fmamk_f32 s2, s27, 0xcf800000, s2
	s_cvt_u32_f32 s29, s27
	s_wait_alu 0xfffe
	s_delay_alu instid0(SALU_CYCLE_1) | instskip(SKIP_1) | instid1(SALU_CYCLE_2)
	s_cvt_u32_f32 s28, s2
	s_wait_alu 0xfffe
	s_mul_u64 s[34:35], s[30:31], s[28:29]
	s_wait_alu 0xfffe
	s_mul_hi_u32 s37, s28, s35
	s_mul_i32 s36, s28, s35
	s_mul_hi_u32 s2, s28, s34
	s_mul_i32 s33, s29, s34
	s_wait_alu 0xfffe
	s_add_nc_u64 s[36:37], s[2:3], s[36:37]
	s_mul_hi_u32 s27, s29, s34
	s_mul_hi_u32 s38, s29, s35
	s_add_co_u32 s2, s36, s33
	s_wait_alu 0xfffe
	s_add_co_ci_u32 s2, s37, s27
	s_mul_i32 s34, s29, s35
	s_add_co_ci_u32 s35, s38, 0
	s_wait_alu 0xfffe
	s_add_nc_u64 s[34:35], s[2:3], s[34:35]
	s_wait_alu 0xfffe
	v_add_co_u32 v3, s2, s28, s34
	s_delay_alu instid0(VALU_DEP_1) | instskip(SKIP_1) | instid1(VALU_DEP_1)
	s_cmp_lg_u32 s2, 0
	s_add_co_ci_u32 s29, s29, s35
	v_readfirstlane_b32 s28, v3
	s_wait_alu 0xfffe
	s_delay_alu instid0(VALU_DEP_1)
	s_mul_u64 s[30:31], s[30:31], s[28:29]
	s_wait_alu 0xfffe
	s_mul_hi_u32 s35, s28, s31
	s_mul_i32 s34, s28, s31
	s_mul_hi_u32 s2, s28, s30
	s_mul_i32 s33, s29, s30
	s_wait_alu 0xfffe
	s_add_nc_u64 s[34:35], s[2:3], s[34:35]
	s_mul_hi_u32 s27, s29, s30
	s_mul_hi_u32 s28, s29, s31
	s_wait_alu 0xfffe
	s_add_co_u32 s2, s34, s33
	s_add_co_ci_u32 s2, s35, s27
	s_mul_i32 s30, s29, s31
	s_add_co_ci_u32 s31, s28, 0
	s_wait_alu 0xfffe
	s_add_nc_u64 s[30:31], s[2:3], s[30:31]
	s_wait_alu 0xfffe
	v_add_co_u32 v3, s2, v3, s30
	s_delay_alu instid0(VALU_DEP_1) | instskip(SKIP_1) | instid1(VALU_DEP_1)
	s_cmp_lg_u32 s2, 0
	s_add_co_ci_u32 s2, s29, s31
	v_mul_hi_u32 v9, v12, v3
	s_wait_alu 0xfffe
	v_mad_co_u64_u32 v[7:8], null, v12, s2, 0
	v_mad_co_u64_u32 v[14:15], null, v13, v3, 0
	;; [unrolled: 1-line block ×3, first 2 shown]
	s_delay_alu instid0(VALU_DEP_3) | instskip(SKIP_1) | instid1(VALU_DEP_4)
	v_add_co_u32 v3, vcc_lo, v9, v7
	s_wait_alu 0xfffd
	v_add_co_ci_u32_e32 v7, vcc_lo, 0, v8, vcc_lo
	s_delay_alu instid0(VALU_DEP_2) | instskip(SKIP_1) | instid1(VALU_DEP_2)
	v_add_co_u32 v3, vcc_lo, v3, v14
	s_wait_alu 0xfffd
	v_add_co_ci_u32_e32 v3, vcc_lo, v7, v15, vcc_lo
	s_wait_alu 0xfffd
	v_add_co_ci_u32_e32 v7, vcc_lo, 0, v17, vcc_lo
	s_delay_alu instid0(VALU_DEP_2) | instskip(SKIP_1) | instid1(VALU_DEP_2)
	v_add_co_u32 v3, vcc_lo, v3, v16
	s_wait_alu 0xfffd
	v_add_co_ci_u32_e32 v9, vcc_lo, 0, v7, vcc_lo
	s_delay_alu instid0(VALU_DEP_2) | instskip(SKIP_1) | instid1(VALU_DEP_3)
	v_mul_lo_u32 v11, s25, v3
	v_mad_co_u64_u32 v[7:8], null, s24, v3, 0
	v_mul_lo_u32 v14, s24, v9
	s_delay_alu instid0(VALU_DEP_2) | instskip(NEXT) | instid1(VALU_DEP_2)
	v_sub_co_u32 v7, vcc_lo, v12, v7
	v_add3_u32 v8, v8, v14, v11
	s_delay_alu instid0(VALU_DEP_1) | instskip(SKIP_1) | instid1(VALU_DEP_1)
	v_sub_nc_u32_e32 v11, v13, v8
	s_wait_alu 0xfffd
	v_subrev_co_ci_u32_e64 v11, s2, s25, v11, vcc_lo
	v_add_co_u32 v14, s2, v3, 2
	s_wait_alu 0xf1ff
	v_add_co_ci_u32_e64 v15, s2, 0, v9, s2
	v_sub_co_u32 v16, s2, v7, s24
	v_sub_co_ci_u32_e32 v8, vcc_lo, v13, v8, vcc_lo
	s_wait_alu 0xf1ff
	v_subrev_co_ci_u32_e64 v11, s2, 0, v11, s2
	s_delay_alu instid0(VALU_DEP_3) | instskip(NEXT) | instid1(VALU_DEP_3)
	v_cmp_le_u32_e32 vcc_lo, s24, v16
	v_cmp_eq_u32_e64 s2, s25, v8
	s_wait_alu 0xfffd
	v_cndmask_b32_e64 v16, 0, -1, vcc_lo
	v_cmp_le_u32_e32 vcc_lo, s25, v11
	s_wait_alu 0xfffd
	v_cndmask_b32_e64 v17, 0, -1, vcc_lo
	v_cmp_le_u32_e32 vcc_lo, s24, v7
	;; [unrolled: 3-line block ×3, first 2 shown]
	s_wait_alu 0xfffd
	v_cndmask_b32_e64 v18, 0, -1, vcc_lo
	v_cmp_eq_u32_e32 vcc_lo, s25, v11
	s_wait_alu 0xf1ff
	s_delay_alu instid0(VALU_DEP_2)
	v_cndmask_b32_e64 v7, v18, v7, s2
	s_wait_alu 0xfffd
	v_cndmask_b32_e32 v11, v17, v16, vcc_lo
	v_add_co_u32 v16, vcc_lo, v3, 1
	s_wait_alu 0xfffd
	v_add_co_ci_u32_e32 v17, vcc_lo, 0, v9, vcc_lo
	s_delay_alu instid0(VALU_DEP_3) | instskip(SKIP_1) | instid1(VALU_DEP_2)
	v_cmp_ne_u32_e32 vcc_lo, 0, v11
	s_wait_alu 0xfffd
	v_dual_cndmask_b32 v8, v17, v15 :: v_dual_cndmask_b32 v11, v16, v14
	v_cmp_ne_u32_e32 vcc_lo, 0, v7
	s_wait_alu 0xfffd
	s_delay_alu instid0(VALU_DEP_2)
	v_dual_cndmask_b32 v9, v9, v8 :: v_dual_cndmask_b32 v8, v3, v11
.LBB0_4:                                ;   in Loop: Header=BB0_2 Depth=1
	s_wait_alu 0xfffe
	s_and_not1_saveexec_b32 s2, s26
	s_cbranch_execz .LBB0_6
; %bb.5:                                ;   in Loop: Header=BB0_2 Depth=1
	v_cvt_f32_u32_e32 v3, s24
	s_sub_co_i32 s26, 0, s24
	s_delay_alu instid0(VALU_DEP_1) | instskip(NEXT) | instid1(TRANS32_DEP_1)
	v_rcp_iflag_f32_e32 v3, v3
	v_mul_f32_e32 v3, 0x4f7ffffe, v3
	s_delay_alu instid0(VALU_DEP_1) | instskip(SKIP_1) | instid1(VALU_DEP_1)
	v_cvt_u32_f32_e32 v3, v3
	s_wait_alu 0xfffe
	v_mul_lo_u32 v7, s26, v3
	s_delay_alu instid0(VALU_DEP_1) | instskip(NEXT) | instid1(VALU_DEP_1)
	v_mul_hi_u32 v7, v3, v7
	v_add_nc_u32_e32 v3, v3, v7
	s_delay_alu instid0(VALU_DEP_1) | instskip(NEXT) | instid1(VALU_DEP_1)
	v_mul_hi_u32 v3, v12, v3
	v_mul_lo_u32 v7, v3, s24
	s_delay_alu instid0(VALU_DEP_1) | instskip(NEXT) | instid1(VALU_DEP_1)
	v_sub_nc_u32_e32 v7, v12, v7
	v_subrev_nc_u32_e32 v9, s24, v7
	v_cmp_le_u32_e32 vcc_lo, s24, v7
	s_wait_alu 0xfffd
	s_delay_alu instid0(VALU_DEP_2) | instskip(NEXT) | instid1(VALU_DEP_1)
	v_dual_cndmask_b32 v7, v7, v9 :: v_dual_add_nc_u32 v8, 1, v3
	v_cndmask_b32_e32 v3, v3, v8, vcc_lo
	v_mov_b32_e32 v9, v10
	s_delay_alu instid0(VALU_DEP_3) | instskip(NEXT) | instid1(VALU_DEP_3)
	v_cmp_le_u32_e32 vcc_lo, s24, v7
	v_add_nc_u32_e32 v8, 1, v3
	s_wait_alu 0xfffd
	s_delay_alu instid0(VALU_DEP_1)
	v_cndmask_b32_e32 v8, v3, v8, vcc_lo
.LBB0_6:                                ;   in Loop: Header=BB0_2 Depth=1
	s_wait_alu 0xfffe
	s_or_b32 exec_lo, exec_lo, s2
	v_mul_lo_u32 v3, v9, s24
	s_delay_alu instid0(VALU_DEP_2)
	v_mul_lo_u32 v7, v8, s25
	s_load_b64 s[26:27], s[18:19], 0x0
	v_mad_co_u64_u32 v[14:15], null, v8, s24, 0
	s_load_b64 s[24:25], s[16:17], 0x0
	s_add_nc_u64 s[20:21], s[20:21], 1
	s_add_nc_u64 s[16:17], s[16:17], 8
	s_wait_alu 0xfffe
	v_cmp_ge_u64_e64 s2, s[20:21], s[10:11]
	s_add_nc_u64 s[18:19], s[18:19], 8
	s_add_nc_u64 s[22:23], s[22:23], 8
	v_add3_u32 v3, v15, v7, v3
	v_sub_co_u32 v7, vcc_lo, v12, v14
	s_wait_alu 0xfffd
	s_delay_alu instid0(VALU_DEP_2) | instskip(SKIP_2) | instid1(VALU_DEP_1)
	v_sub_co_ci_u32_e32 v3, vcc_lo, v13, v3, vcc_lo
	s_and_b32 vcc_lo, exec_lo, s2
	s_wait_kmcnt 0x0
	v_mul_lo_u32 v11, s26, v3
	v_mul_lo_u32 v12, s27, v7
	v_mad_co_u64_u32 v[1:2], null, s26, v7, v[1:2]
	v_mul_lo_u32 v3, s24, v3
	v_mul_lo_u32 v13, s25, v7
	v_mad_co_u64_u32 v[4:5], null, s24, v7, v[4:5]
	s_delay_alu instid0(VALU_DEP_4) | instskip(NEXT) | instid1(VALU_DEP_2)
	v_add3_u32 v2, v12, v2, v11
	v_add3_u32 v5, v13, v5, v3
	s_wait_alu 0xfffe
	s_cbranch_vccnz .LBB0_8
; %bb.7:                                ;   in Loop: Header=BB0_2 Depth=1
	v_dual_mov_b32 v13, v9 :: v_dual_mov_b32 v12, v8
	s_branch .LBB0_2
.LBB0_8:
	s_load_b64 s[0:1], s[0:1], 0x28
	v_mul_hi_u32 v3, 0xcccccccd, v6
	v_mul_hi_u32 v7, 0x15555556, v0
	s_lshl_b64 s[10:11], s[10:11], 3
	s_wait_alu 0xfffe
	s_add_nc_u64 s[2:3], s[14:15], s[10:11]
	s_delay_alu instid0(VALU_DEP_2) | instskip(NEXT) | instid1(VALU_DEP_1)
	v_lshrrev_b32_e32 v3, 3, v3
	v_mul_lo_u32 v3, v3, 10
	s_wait_kmcnt 0x0
	v_cmp_gt_u64_e32 vcc_lo, s[0:1], v[8:9]
	v_cmp_le_u64_e64 s0, s[0:1], v[8:9]
	s_delay_alu instid0(VALU_DEP_3) | instskip(NEXT) | instid1(VALU_DEP_2)
	v_sub_nc_u32_e32 v3, v6, v3
                                        ; implicit-def: $vgpr6
	s_and_saveexec_b32 s1, s0
	s_wait_alu 0xfffe
	s_xor_b32 s0, exec_lo, s1
; %bb.9:
	v_mul_u32_u24_e32 v1, 12, v7
                                        ; implicit-def: $vgpr7
	s_delay_alu instid0(VALU_DEP_1)
	v_sub_nc_u32_e32 v6, v0, v1
                                        ; implicit-def: $vgpr0
                                        ; implicit-def: $vgpr1_vgpr2
; %bb.10:
	s_wait_alu 0xfffe
	s_or_saveexec_b32 s1, s0
	s_load_b64 s[2:3], s[2:3], 0x0
	v_mul_u32_u24_e32 v3, 0x91, v3
	s_delay_alu instid0(VALU_DEP_1)
	v_lshlrev_b32_e32 v18, 4, v3
	s_xor_b32 exec_lo, exec_lo, s1
	s_cbranch_execz .LBB0_14
; %bb.11:
	s_add_nc_u64 s[10:11], s[12:13], s[10:11]
	v_lshlrev_b64_e32 v[1:2], 4, v[1:2]
	s_load_b64 s[10:11], s[10:11], 0x0
	s_wait_kmcnt 0x0
	v_mul_lo_u32 v6, s11, v8
	v_mul_lo_u32 v12, s10, v9
	v_mad_co_u64_u32 v[10:11], null, s10, v8, 0
	s_delay_alu instid0(VALU_DEP_1) | instskip(SKIP_1) | instid1(VALU_DEP_2)
	v_add3_u32 v11, v11, v12, v6
	v_mul_u32_u24_e32 v6, 12, v7
	v_lshlrev_b64_e32 v[10:11], 4, v[10:11]
	s_delay_alu instid0(VALU_DEP_2) | instskip(NEXT) | instid1(VALU_DEP_1)
	v_sub_nc_u32_e32 v6, v0, v6
	v_lshlrev_b32_e32 v59, 4, v6
	s_delay_alu instid0(VALU_DEP_3) | instskip(SKIP_1) | instid1(VALU_DEP_4)
	v_add_co_u32 v0, s0, s4, v10
	s_wait_alu 0xf1ff
	v_add_co_ci_u32_e64 v7, s0, s5, v11, s0
	s_mov_b32 s4, exec_lo
	s_delay_alu instid0(VALU_DEP_2) | instskip(SKIP_1) | instid1(VALU_DEP_2)
	v_add_co_u32 v0, s0, v0, v1
	s_wait_alu 0xf1ff
	v_add_co_ci_u32_e64 v1, s0, v7, v2, s0
	v_add3_u32 v2, 0, v18, v59
	s_delay_alu instid0(VALU_DEP_3) | instskip(SKIP_1) | instid1(VALU_DEP_3)
	v_add_co_u32 v55, s0, v0, v59
	s_wait_alu 0xf1ff
	v_add_co_ci_u32_e64 v56, s0, 0, v1, s0
	s_clause 0xb
	global_load_b128 v[10:13], v[55:56], off
	global_load_b128 v[14:17], v[55:56], off offset:192
	global_load_b128 v[19:22], v[55:56], off offset:384
	;; [unrolled: 1-line block ×11, first 2 shown]
	s_wait_loadcnt 0xb
	ds_store_b128 v2, v[10:13]
	s_wait_loadcnt 0xa
	ds_store_b128 v2, v[14:17] offset:192
	s_wait_loadcnt 0x9
	ds_store_b128 v2, v[19:22] offset:384
	;; [unrolled: 2-line block ×11, first 2 shown]
	v_cmpx_eq_u32_e32 11, v6
	s_cbranch_execz .LBB0_13
; %bb.12:
	global_load_b128 v[10:13], v[0:1], off offset:2304
	v_mov_b32_e32 v6, 11
	s_wait_loadcnt 0x0
	ds_store_b128 v2, v[10:13] offset:2128
.LBB0_13:
	s_wait_alu 0xfffe
	s_or_b32 exec_lo, exec_lo, s4
.LBB0_14:
	s_delay_alu instid0(SALU_CYCLE_1)
	s_or_b32 exec_lo, exec_lo, s1
	v_lshl_add_u32 v16, v3, 4, 0
	v_lshlrev_b32_e32 v19, 4, v6
	global_wb scope:SCOPE_SE
	s_wait_dscnt 0x0
	s_wait_kmcnt 0x0
	s_barrier_signal -1
	s_barrier_wait -1
	global_inv scope:SCOPE_SE
	v_add_nc_u32_e32 v17, v16, v19
	v_sub_nc_u32_e32 v20, v16, v19
	s_mov_b32 s1, exec_lo
                                        ; implicit-def: $vgpr10_vgpr11
	ds_load_b64 v[12:13], v17
	ds_load_b64 v[14:15], v20 offset:2304
	s_wait_dscnt 0x0
	v_add_f64_e32 v[0:1], v[12:13], v[14:15]
	v_add_f64_e64 v[2:3], v[12:13], -v[14:15]
	v_cmpx_ne_u32_e32 0, v6
	s_wait_alu 0xfffe
	s_xor_b32 s1, exec_lo, s1
	s_cbranch_execz .LBB0_16
; %bb.15:
	v_mov_b32_e32 v7, 0
	v_add_f64_e32 v[10:11], v[12:13], v[14:15]
	v_add_f64_e64 v[25:26], v[12:13], -v[14:15]
	s_delay_alu instid0(VALU_DEP_3) | instskip(NEXT) | instid1(VALU_DEP_1)
	v_lshlrev_b64_e32 v[0:1], 4, v[6:7]
	v_add_co_u32 v0, s0, s8, v0
	s_wait_alu 0xf1ff
	s_delay_alu instid0(VALU_DEP_2)
	v_add_co_ci_u32_e64 v1, s0, s9, v1, s0
	global_load_b128 v[21:24], v[0:1], off offset:2208
	ds_load_b64 v[0:1], v20 offset:2312
	ds_load_b64 v[2:3], v17 offset:8
	s_wait_dscnt 0x0
	v_add_f64_e32 v[12:13], v[0:1], v[2:3]
	v_add_f64_e64 v[0:1], v[2:3], -v[0:1]
	s_wait_loadcnt 0x0
	v_fma_f64 v[2:3], v[25:26], v[23:24], v[10:11]
	v_fma_f64 v[10:11], -v[25:26], v[23:24], v[10:11]
	s_delay_alu instid0(VALU_DEP_3) | instskip(SKIP_1) | instid1(VALU_DEP_4)
	v_fma_f64 v[14:15], v[12:13], v[23:24], -v[0:1]
	v_fma_f64 v[23:24], v[12:13], v[23:24], v[0:1]
	v_fma_f64 v[0:1], -v[12:13], v[21:22], v[2:3]
	s_delay_alu instid0(VALU_DEP_4) | instskip(NEXT) | instid1(VALU_DEP_4)
	v_fma_f64 v[12:13], v[12:13], v[21:22], v[10:11]
	v_fma_f64 v[14:15], v[25:26], v[21:22], v[14:15]
	s_delay_alu instid0(VALU_DEP_4)
	v_fma_f64 v[2:3], v[25:26], v[21:22], v[23:24]
	v_dual_mov_b32 v11, v7 :: v_dual_mov_b32 v10, v6
	ds_store_b128 v20, v[12:15] offset:2304
.LBB0_16:
	s_wait_alu 0xfffe
	s_and_not1_saveexec_b32 s0, s1
	s_cbranch_execz .LBB0_18
; %bb.17:
	ds_load_b128 v[10:13], v16 offset:1152
	s_wait_dscnt 0x0
	v_add_f64_e32 v[21:22], v[10:11], v[10:11]
	v_mul_f64_e32 v[23:24], -2.0, v[12:13]
	v_mov_b32_e32 v10, 0
	v_mov_b32_e32 v11, 0
	ds_store_b128 v16, v[21:24] offset:1152
.LBB0_18:
	s_wait_alu 0xfffe
	s_or_b32 exec_lo, exec_lo, s0
	v_lshlrev_b64_e32 v[10:11], 4, v[10:11]
	s_add_nc_u64 s[0:1], s[8:9], 0x8a0
	s_mov_b32 s10, 0xe8584caa
	s_mov_b32 s11, 0xbfebb67a
	;; [unrolled: 1-line block ×3, first 2 shown]
	s_wait_alu 0xfffe
	s_mov_b32 s4, s10
	v_add_co_u32 v33, s0, s0, v10
	s_wait_alu 0xf1ff
	v_add_co_ci_u32_e64 v34, s0, s1, v11, s0
	v_cmp_gt_u32_e64 s0, 6, v6
	v_add_nc_u16 v7, v6, 12
	s_clause 0x1
	global_load_b128 v[10:13], v[33:34], off offset:192
	global_load_b128 v[21:24], v[33:34], off offset:384
	ds_store_b128 v17, v[0:3]
	ds_load_b128 v[0:3], v17 offset:192
	ds_load_b128 v[25:28], v20 offset:2112
	global_load_b128 v[29:32], v[33:34], off offset:576
	s_wait_dscnt 0x0
	v_add_f64_e32 v[14:15], v[0:1], v[25:26]
	v_add_f64_e32 v[35:36], v[27:28], v[2:3]
	v_add_f64_e64 v[25:26], v[0:1], -v[25:26]
	v_add_f64_e64 v[0:1], v[2:3], -v[27:28]
	s_wait_loadcnt 0x2
	s_delay_alu instid0(VALU_DEP_2) | instskip(NEXT) | instid1(VALU_DEP_2)
	v_fma_f64 v[2:3], v[25:26], v[12:13], v[14:15]
	v_fma_f64 v[27:28], v[35:36], v[12:13], v[0:1]
	v_fma_f64 v[14:15], -v[25:26], v[12:13], v[14:15]
	v_fma_f64 v[37:38], v[35:36], v[12:13], -v[0:1]
	s_delay_alu instid0(VALU_DEP_4) | instskip(NEXT) | instid1(VALU_DEP_4)
	v_fma_f64 v[0:1], -v[35:36], v[10:11], v[2:3]
	v_fma_f64 v[2:3], v[25:26], v[10:11], v[27:28]
	s_delay_alu instid0(VALU_DEP_4) | instskip(NEXT) | instid1(VALU_DEP_4)
	v_fma_f64 v[12:13], v[35:36], v[10:11], v[14:15]
	v_fma_f64 v[14:15], v[25:26], v[10:11], v[37:38]
	ds_store_b128 v17, v[0:3] offset:192
	ds_store_b128 v20, v[12:15] offset:2112
	ds_load_b128 v[0:3], v17 offset:384
	ds_load_b128 v[10:13], v20 offset:1920
	global_load_b128 v[25:28], v[33:34], off offset:768
	s_wait_dscnt 0x0
	v_add_f64_e32 v[14:15], v[0:1], v[10:11]
	v_add_f64_e32 v[35:36], v[12:13], v[2:3]
	v_add_f64_e64 v[37:38], v[0:1], -v[10:11]
	v_add_f64_e64 v[0:1], v[2:3], -v[12:13]
	s_wait_loadcnt 0x2
	s_delay_alu instid0(VALU_DEP_2) | instskip(NEXT) | instid1(VALU_DEP_2)
	v_fma_f64 v[2:3], v[37:38], v[23:24], v[14:15]
	v_fma_f64 v[10:11], v[35:36], v[23:24], v[0:1]
	v_fma_f64 v[12:13], -v[37:38], v[23:24], v[14:15]
	v_fma_f64 v[14:15], v[35:36], v[23:24], -v[0:1]
	s_delay_alu instid0(VALU_DEP_4) | instskip(NEXT) | instid1(VALU_DEP_4)
	v_fma_f64 v[0:1], -v[35:36], v[21:22], v[2:3]
	v_fma_f64 v[2:3], v[37:38], v[21:22], v[10:11]
	s_delay_alu instid0(VALU_DEP_4) | instskip(NEXT) | instid1(VALU_DEP_4)
	v_fma_f64 v[10:11], v[35:36], v[21:22], v[12:13]
	v_fma_f64 v[12:13], v[37:38], v[21:22], v[14:15]
	ds_store_b128 v17, v[0:3] offset:384
	ds_store_b128 v20, v[10:13] offset:1920
	;; [unrolled: 22-line block ×3, first 2 shown]
	ds_load_b128 v[0:3], v17 offset:768
	ds_load_b128 v[10:13], v20 offset:1536
	s_wait_dscnt 0x0
	v_add_f64_e32 v[14:15], v[0:1], v[10:11]
	v_add_f64_e32 v[29:30], v[12:13], v[2:3]
	v_add_f64_e64 v[31:32], v[0:1], -v[10:11]
	v_add_f64_e64 v[0:1], v[2:3], -v[12:13]
	s_wait_loadcnt 0x1
	s_delay_alu instid0(VALU_DEP_2) | instskip(NEXT) | instid1(VALU_DEP_2)
	v_fma_f64 v[2:3], v[31:32], v[27:28], v[14:15]
	v_fma_f64 v[10:11], v[29:30], v[27:28], v[0:1]
	v_fma_f64 v[12:13], -v[31:32], v[27:28], v[14:15]
	v_fma_f64 v[14:15], v[29:30], v[27:28], -v[0:1]
	s_delay_alu instid0(VALU_DEP_4) | instskip(NEXT) | instid1(VALU_DEP_4)
	v_fma_f64 v[0:1], -v[29:30], v[25:26], v[2:3]
	v_fma_f64 v[2:3], v[31:32], v[25:26], v[10:11]
	s_delay_alu instid0(VALU_DEP_4) | instskip(NEXT) | instid1(VALU_DEP_4)
	v_fma_f64 v[10:11], v[29:30], v[25:26], v[12:13]
	v_fma_f64 v[12:13], v[31:32], v[25:26], v[14:15]
	ds_store_b128 v17, v[0:3] offset:768
	ds_store_b128 v20, v[10:13] offset:1536
	ds_load_b128 v[0:3], v17 offset:960
	ds_load_b128 v[10:13], v20 offset:1344
	s_wait_dscnt 0x0
	v_add_f64_e32 v[14:15], v[0:1], v[10:11]
	v_add_f64_e32 v[25:26], v[12:13], v[2:3]
	v_add_f64_e64 v[0:1], v[0:1], -v[10:11]
	v_add_f64_e64 v[2:3], v[2:3], -v[12:13]
	s_wait_loadcnt 0x0
	s_delay_alu instid0(VALU_DEP_2) | instskip(NEXT) | instid1(VALU_DEP_2)
	v_fma_f64 v[10:11], v[0:1], v[23:24], v[14:15]
	v_fma_f64 v[12:13], v[25:26], v[23:24], v[2:3]
	v_fma_f64 v[14:15], -v[0:1], v[23:24], v[14:15]
	v_fma_f64 v[2:3], v[25:26], v[23:24], -v[2:3]
	s_delay_alu instid0(VALU_DEP_4) | instskip(NEXT) | instid1(VALU_DEP_4)
	v_fma_f64 v[10:11], -v[25:26], v[21:22], v[10:11]
	v_fma_f64 v[12:13], v[0:1], v[21:22], v[12:13]
	s_delay_alu instid0(VALU_DEP_4) | instskip(NEXT) | instid1(VALU_DEP_4)
	v_fma_f64 v[23:24], v[25:26], v[21:22], v[14:15]
	v_fma_f64 v[25:26], v[0:1], v[21:22], v[2:3]
	v_add3_u32 v2, 0, v19, v18
	v_add_nc_u32_e32 v3, -6, v6
	ds_store_b128 v17, v[10:13] offset:960
	ds_store_b128 v20, v[23:26] offset:1344
	global_wb scope:SCOPE_SE
	s_wait_dscnt 0x0
	s_barrier_signal -1
	s_barrier_wait -1
	global_inv scope:SCOPE_SE
	global_wb scope:SCOPE_SE
	s_barrier_signal -1
	s_barrier_wait -1
	global_inv scope:SCOPE_SE
	ds_load_b128 v[10:13], v2 offset:1920
	ds_load_b128 v[19:22], v2 offset:1152
	;; [unrolled: 1-line block ×10, first 2 shown]
	s_wait_alu 0xf1ff
	v_cndmask_b32_e64 v3, v3, v6, s0
	s_wait_dscnt 0x8
	v_add_f64_e32 v[0:1], v[21:22], v[12:13]
	v_add_f64_e32 v[55:56], v[19:20], v[10:11]
	s_wait_dscnt 0x6
	v_add_f64_e32 v[14:15], v[25:26], v[29:30]
	v_add_f64_e64 v[57:58], v[19:20], -v[10:11]
	v_add_f64_e32 v[59:60], v[23:24], v[27:28]
	v_add_f64_e64 v[63:64], v[23:24], -v[27:28]
	s_wait_dscnt 0x2
	v_add_f64_e32 v[65:66], v[43:44], v[39:40]
	v_add_f64_e32 v[67:68], v[45:46], v[41:42]
	v_add_f64_e64 v[69:70], v[21:22], -v[12:13]
	s_wait_dscnt 0x0
	v_add_f64_e32 v[75:76], v[47:48], v[51:52]
	v_add_f64_e32 v[77:78], v[49:50], v[53:54]
	v_add_f64_e64 v[79:80], v[25:26], -v[29:30]
	v_add_f64_e64 v[85:86], v[45:46], -v[41:42]
	v_add_f64_e32 v[19:20], v[31:32], v[19:20]
	v_add_f64_e32 v[21:22], v[33:34], v[21:22]
	v_add_f64_e32 v[23:24], v[35:36], v[23:24]
	v_add_f64_e32 v[25:26], v[37:38], v[25:26]
	v_fma_f64 v[0:1], v[0:1], -0.5, v[33:34]
	v_fma_f64 v[71:72], v[55:56], -0.5, v[31:32]
	;; [unrolled: 1-line block ×3, first 2 shown]
	v_add_f64_e64 v[33:34], v[49:50], -v[53:54]
	v_fma_f64 v[81:82], v[59:60], -0.5, v[35:36]
	ds_load_b128 v[59:62], v2 offset:192
	v_add_f64_e32 v[19:20], v[19:20], v[10:11]
	v_add_f64_e32 v[21:22], v[21:22], v[12:13]
	;; [unrolled: 1-line block ×4, first 2 shown]
	s_wait_dscnt 0x0
	v_add_f64_e32 v[31:32], v[59:60], v[47:48]
	v_add_f64_e32 v[49:50], v[61:62], v[49:50]
	v_add_f64_e64 v[47:48], v[47:48], -v[51:52]
	v_fma_f64 v[59:60], v[75:76], -0.5, v[59:60]
	v_fma_f64 v[61:62], v[77:78], -0.5, v[61:62]
	s_wait_alu 0xfffe
	v_fma_f64 v[73:74], v[57:58], s[4:5], v[0:1]
	v_fma_f64 v[0:1], v[57:58], s[10:11], v[0:1]
	;; [unrolled: 1-line block ×4, first 2 shown]
	ds_load_b128 v[55:58], v17
	global_wb scope:SCOPE_SE
	s_wait_dscnt 0x0
	s_barrier_signal -1
	s_barrier_wait -1
	global_inv scope:SCOPE_SE
	v_add_f64_e32 v[63:64], v[55:56], v[43:44]
	v_add_f64_e32 v[45:46], v[57:58], v[45:46]
	v_add_f64_e64 v[43:44], v[43:44], -v[39:40]
	v_fma_f64 v[35:36], v[65:66], -0.5, v[55:56]
	v_fma_f64 v[37:38], v[67:68], -0.5, v[57:58]
	v_fma_f64 v[55:56], v[69:70], s[10:11], v[71:72]
	v_fma_f64 v[57:58], v[69:70], s[4:5], v[71:72]
	;; [unrolled: 1-line block ×3, first 2 shown]
	v_add_f64_e32 v[31:32], v[31:32], v[51:52]
	v_mul_f64_e32 v[65:66], s[10:11], v[73:74]
	v_mul_f64_e32 v[69:70], 0.5, v[73:74]
	v_mul_f64_e32 v[67:68], s[10:11], v[0:1]
	v_mul_f64_e32 v[0:1], -0.5, v[0:1]
	v_fma_f64 v[73:74], v[79:80], s[4:5], v[81:82]
	v_mul_f64_e32 v[75:76], s[10:11], v[83:84]
	v_mul_f64_e32 v[79:80], 0.5, v[83:84]
	v_mul_f64_e32 v[77:78], s[10:11], v[14:15]
	v_mul_f64_e32 v[14:15], -0.5, v[14:15]
	v_add_f64_e32 v[39:40], v[63:64], v[39:40]
	v_add_f64_e32 v[41:42], v[45:46], v[41:42]
	;; [unrolled: 1-line block ×3, first 2 shown]
	v_fma_f64 v[49:50], v[85:86], s[10:11], v[35:36]
	v_fma_f64 v[53:54], v[43:44], s[4:5], v[37:38]
	;; [unrolled: 1-line block ×4, first 2 shown]
	v_add_f64_e32 v[23:24], v[31:32], v[27:28]
	v_add_f64_e64 v[27:28], v[31:32], -v[27:28]
	v_fma_f64 v[43:44], v[55:56], 0.5, v[65:66]
	v_fma_f64 v[55:56], v[55:56], s[4:5], v[69:70]
	v_fma_f64 v[65:66], v[57:58], -0.5, v[67:68]
	v_fma_f64 v[0:1], v[57:58], s[4:5], v[0:1]
	v_fma_f64 v[57:58], v[33:34], s[10:11], v[59:60]
	;; [unrolled: 1-line block ×3, first 2 shown]
	v_fma_f64 v[69:70], v[71:72], 0.5, v[75:76]
	v_fma_f64 v[71:72], v[71:72], s[4:5], v[79:80]
	v_fma_f64 v[59:60], v[33:34], s[4:5], v[59:60]
	v_fma_f64 v[61:62], v[47:48], s[10:11], v[61:62]
	v_fma_f64 v[75:76], v[73:74], -0.5, v[77:78]
	v_fma_f64 v[14:15], v[73:74], s[4:5], v[14:15]
	v_add_f64_e32 v[10:11], v[39:40], v[19:20]
	v_add_f64_e32 v[12:13], v[41:42], v[21:22]
	v_add_f64_e64 v[19:20], v[39:40], -v[19:20]
	v_add_f64_e64 v[21:22], v[41:42], -v[21:22]
	v_add_f64_e32 v[25:26], v[45:46], v[29:30]
	v_add_f64_e64 v[29:30], v[45:46], -v[29:30]
	v_add_f64_e32 v[31:32], v[49:50], v[43:44]
	v_add_f64_e32 v[33:34], v[53:54], v[55:56]
	;; [unrolled: 1-line block ×4, first 2 shown]
	v_add_f64_e64 v[39:40], v[49:50], -v[43:44]
	v_add_f64_e64 v[41:42], v[53:54], -v[55:56]
	;; [unrolled: 1-line block ×4, first 2 shown]
	v_add_f64_e32 v[47:48], v[57:58], v[69:70]
	v_add_f64_e32 v[49:50], v[67:68], v[71:72]
	v_add_f64_e32 v[51:52], v[59:60], v[75:76]
	v_add_f64_e32 v[53:54], v[61:62], v[14:15]
	v_add_f64_e64 v[55:56], v[57:58], -v[69:70]
	v_add_f64_e64 v[57:58], v[67:68], -v[71:72]
	;; [unrolled: 1-line block ×4, first 2 shown]
	v_mov_b32_e32 v1, 0
	v_mul_i32_i24_e32 v0, 5, v3
	v_lshlrev_b32_e32 v3, 4, v3
	s_delay_alu instid0(VALU_DEP_2)
	v_lshlrev_b64_e32 v[14:15], 4, v[0:1]
	v_mad_u32_u24 v0, 0x50, v6, v2
	ds_store_b128 v0, v[10:13]
	ds_store_b128 v0, v[31:34] offset:16
	ds_store_b128 v0, v[35:38] offset:32
	;; [unrolled: 1-line block ×11, first 2 shown]
	v_add_co_u32 v14, s0, s8, v14
	s_wait_alu 0xf1ff
	v_add_co_ci_u32_e64 v15, s0, s9, v15, s0
	global_wb scope:SCOPE_SE
	s_wait_dscnt 0x0
	s_barrier_signal -1
	s_barrier_wait -1
	global_inv scope:SCOPE_SE
	s_clause 0x1
	global_load_b128 v[10:13], v[14:15], off offset:16
	global_load_b128 v[19:22], v[14:15], off offset:32
	v_and_b32_e32 v23, 0xff, v7
	v_mad_i32_i24 v0, 0xffffffb0, v6, v0
	v_cmp_lt_u32_e64 s0, 5, v6
	s_delay_alu instid0(VALU_DEP_3) | instskip(NEXT) | instid1(VALU_DEP_1)
	v_mul_lo_u16 v23, 0xab, v23
	v_lshrrev_b16 v91, 10, v23
	global_load_b128 v[23:26], v[14:15], off offset:48
	v_mul_lo_u16 v27, v91, 6
	s_delay_alu instid0(VALU_DEP_1) | instskip(SKIP_2) | instid1(VALU_DEP_1)
	v_sub_nc_u16 v7, v7, v27
	global_load_b128 v[27:30], v[14:15], off offset:64
	v_and_b32_e32 v7, 0xff, v7
	v_mul_u32_u24_e32 v31, 5, v7
	v_lshlrev_b32_e32 v7, 4, v7
	s_delay_alu instid0(VALU_DEP_2)
	v_lshlrev_b32_e32 v51, 4, v31
	s_clause 0x5
	global_load_b128 v[31:34], v51, s[8:9] offset:32
	global_load_b128 v[35:38], v51, s[8:9] offset:64
	global_load_b128 v[39:42], v[14:15], off
	global_load_b128 v[43:46], v51, s[8:9]
	global_load_b128 v[47:50], v51, s[8:9] offset:16
	global_load_b128 v[51:54], v51, s[8:9] offset:48
	ds_load_b128 v[55:58], v2 offset:768
	ds_load_b128 v[59:62], v2 offset:960
	;; [unrolled: 1-line block ×3, first 2 shown]
	s_wait_loadcnt_dscnt 0x902
	v_mul_f64_e32 v[79:80], v[57:58], v[12:13]
	v_mul_f64_e32 v[81:82], v[55:56], v[12:13]
	ds_load_b128 v[12:15], v2 offset:1536
	ds_load_b128 v[67:70], v2 offset:1344
	s_wait_loadcnt_dscnt 0x802
	v_mul_f64_e32 v[83:84], v[65:66], v[21:22]
	v_mul_f64_e32 v[21:22], v[63:64], v[21:22]
	ds_load_b128 v[71:74], v2 offset:1920
	ds_load_b128 v[75:78], v2 offset:1728
	s_wait_loadcnt_dscnt 0x703
	v_mul_f64_e32 v[85:86], v[14:15], v[25:26]
	v_mul_f64_e32 v[25:26], v[12:13], v[25:26]
	s_wait_loadcnt_dscnt 0x601
	v_mul_f64_e32 v[87:88], v[73:74], v[29:30]
	v_mul_f64_e32 v[29:30], v[71:72], v[29:30]
	v_fma_f64 v[79:80], v[55:56], v[10:11], v[79:80]
	v_fma_f64 v[81:82], v[57:58], v[10:11], -v[81:82]
	ds_load_b128 v[55:58], v2 offset:2112
	v_fma_f64 v[63:64], v[63:64], v[19:20], v[83:84]
	s_wait_loadcnt 0x5
	v_mul_f64_e32 v[83:84], v[67:68], v[33:34]
	v_fma_f64 v[65:66], v[65:66], v[19:20], -v[21:22]
	ds_load_b128 v[19:22], v0 offset:384
	v_mul_f64_e32 v[33:34], v[69:70], v[33:34]
	v_fma_f64 v[85:86], v[12:13], v[23:24], v[85:86]
	ds_load_b128 v[10:13], v2 offset:576
	s_wait_loadcnt_dscnt 0x402
	v_mul_f64_e32 v[89:90], v[55:56], v[37:38]
	v_fma_f64 v[14:15], v[14:15], v[23:24], -v[25:26]
	ds_load_b128 v[23:26], v0 offset:192
	v_fma_f64 v[71:72], v[71:72], v[27:28], v[87:88]
	v_fma_f64 v[27:28], v[73:74], v[27:28], -v[29:30]
	s_wait_loadcnt_dscnt 0x302
	v_mul_f64_e32 v[29:30], v[19:20], v[41:42]
	v_mul_f64_e32 v[37:38], v[57:58], v[37:38]
	s_wait_loadcnt_dscnt 0x201
	v_mul_f64_e32 v[73:74], v[10:11], v[45:46]
	v_fma_f64 v[69:70], v[69:70], v[31:32], -v[83:84]
	v_mul_f64_e32 v[45:46], v[12:13], v[45:46]
	v_fma_f64 v[31:32], v[67:68], v[31:32], v[33:34]
	v_mul_f64_e32 v[33:34], v[21:22], v[41:42]
	s_wait_loadcnt 0x1
	v_mul_f64_e32 v[41:42], v[61:62], v[49:50]
	v_mul_f64_e32 v[49:50], v[59:60], v[49:50]
	v_fma_f64 v[57:58], v[57:58], v[35:36], -v[89:90]
	v_add_f64_e64 v[87:88], v[81:82], -v[14:15]
	v_add_f64_e64 v[67:68], v[65:66], -v[27:28]
	v_fma_f64 v[21:22], v[21:22], v[39:40], -v[29:30]
	v_add_f64_e32 v[29:30], v[65:66], v[27:28]
	v_fma_f64 v[35:36], v[55:56], v[35:36], v[37:38]
	s_wait_loadcnt 0x0
	v_mul_f64_e32 v[37:38], v[77:78], v[53:54]
	v_mul_f64_e32 v[53:54], v[75:76], v[53:54]
	v_fma_f64 v[55:56], v[12:13], v[43:44], -v[73:74]
	v_fma_f64 v[43:44], v[10:11], v[43:44], v[45:46]
	v_fma_f64 v[19:20], v[19:20], v[39:40], v[33:34]
	v_add_f64_e32 v[33:34], v[63:64], v[71:72]
	v_add_f64_e64 v[39:40], v[63:64], -v[71:72]
	v_fma_f64 v[41:42], v[59:60], v[47:48], v[41:42]
	v_fma_f64 v[47:48], v[61:62], v[47:48], -v[49:50]
	v_add_f64_e32 v[59:60], v[79:80], v[85:86]
	v_add_f64_e32 v[61:62], v[81:82], v[14:15]
	;; [unrolled: 1-line block ×3, first 2 shown]
	v_fma_f64 v[29:30], v[29:30], -0.5, v[21:22]
	v_add_f64_e32 v[45:46], v[31:32], v[35:36]
	v_fma_f64 v[37:38], v[75:76], v[51:52], v[37:38]
	v_fma_f64 v[49:50], v[77:78], v[51:52], -v[53:54]
	v_add_f64_e64 v[51:52], v[31:32], -v[35:36]
	v_add_f64_e64 v[77:78], v[69:70], -v[57:58]
	v_add_f64_e32 v[21:22], v[21:22], v[65:66]
	v_add_f64_e32 v[31:32], v[43:44], v[31:32]
	v_fma_f64 v[33:34], v[33:34], -0.5, v[19:20]
	v_add_f64_e32 v[19:20], v[19:20], v[63:64]
	s_wait_dscnt 0x0
	v_add_f64_e32 v[63:64], v[23:24], v[41:42]
	v_fma_f64 v[53:54], v[12:13], -0.5, v[55:56]
	ds_load_b128 v[10:13], v17
	global_wb scope:SCOPE_SE
	s_wait_dscnt 0x0
	s_barrier_signal -1
	s_barrier_wait -1
	global_inv scope:SCOPE_SE
	v_fma_f64 v[73:74], v[39:40], s[4:5], v[29:30]
	v_fma_f64 v[29:30], v[39:40], s[10:11], v[29:30]
	v_add_f64_e32 v[39:40], v[41:42], v[37:38]
	v_add_f64_e32 v[75:76], v[47:48], v[49:50]
	v_fma_f64 v[45:46], v[45:46], -0.5, v[43:44]
	v_add_f64_e64 v[65:66], v[47:48], -v[49:50]
	v_add_f64_e32 v[47:48], v[25:26], v[47:48]
	v_add_f64_e32 v[43:44], v[55:56], v[69:70]
	v_add_f64_e64 v[41:42], v[41:42], -v[37:38]
	v_add_f64_e32 v[21:22], v[21:22], v[27:28]
	v_add_f64_e32 v[81:82], v[12:13], v[81:82]
	v_fma_f64 v[12:13], v[61:62], -0.5, v[12:13]
	v_add_f64_e32 v[31:32], v[31:32], v[35:36]
	v_fma_f64 v[55:56], v[67:68], s[10:11], v[33:34]
	v_fma_f64 v[33:34], v[67:68], s[4:5], v[33:34]
	v_add_f64_e32 v[19:20], v[19:20], v[71:72]
	v_add_f64_e32 v[27:28], v[63:64], v[37:38]
	v_fma_f64 v[83:84], v[51:52], s[4:5], v[53:54]
	v_fma_f64 v[51:52], v[51:52], s[10:11], v[53:54]
	v_add_f64_e32 v[53:54], v[10:11], v[79:80]
	v_add_f64_e64 v[79:80], v[79:80], -v[85:86]
	v_fma_f64 v[10:11], v[59:60], -0.5, v[10:11]
	v_mul_f64_e32 v[59:60], s[10:11], v[73:74]
	v_mul_f64_e32 v[67:68], 0.5, v[73:74]
	v_mul_f64_e32 v[61:62], s[10:11], v[29:30]
	v_mul_f64_e32 v[29:30], -0.5, v[29:30]
	v_fma_f64 v[23:24], v[39:40], -0.5, v[23:24]
	v_fma_f64 v[25:26], v[75:76], -0.5, v[25:26]
	v_fma_f64 v[39:40], v[77:78], s[10:11], v[45:46]
	v_fma_f64 v[45:46], v[77:78], s[4:5], v[45:46]
	v_add_f64_e32 v[37:38], v[47:48], v[49:50]
	v_add_f64_e32 v[35:36], v[43:44], v[57:58]
	;; [unrolled: 1-line block ×3, first 2 shown]
	v_mul_f64_e32 v[69:70], s[10:11], v[83:84]
	v_mul_f64_e32 v[75:76], 0.5, v[83:84]
	v_mul_f64_e32 v[73:74], s[10:11], v[51:52]
	v_mul_f64_e32 v[51:52], -0.5, v[51:52]
	v_add_f64_e32 v[53:54], v[53:54], v[85:86]
	v_fma_f64 v[43:44], v[87:88], s[10:11], v[10:11]
	v_fma_f64 v[49:50], v[79:80], s[4:5], v[12:13]
	v_fma_f64 v[59:60], v[55:56], 0.5, v[59:60]
	v_fma_f64 v[55:56], v[55:56], s[4:5], v[67:68]
	v_fma_f64 v[47:48], v[87:88], s[4:5], v[10:11]
	;; [unrolled: 1-line block ×3, first 2 shown]
	v_fma_f64 v[61:62], v[33:34], -0.5, v[61:62]
	v_fma_f64 v[63:64], v[33:34], s[4:5], v[29:30]
	v_fma_f64 v[67:68], v[65:66], s[10:11], v[23:24]
	;; [unrolled: 1-line block ×5, first 2 shown]
	v_add_f64_e32 v[23:24], v[27:28], v[31:32]
	v_add_f64_e64 v[27:28], v[27:28], -v[31:32]
	v_add_f64_e32 v[25:26], v[37:38], v[35:36]
	v_add_f64_e64 v[29:30], v[37:38], -v[35:36]
	;; [unrolled: 2-line block ×3, first 2 shown]
	s_wait_alu 0xf1ff
	v_cndmask_b32_e64 v14, 0, 0x240, s0
	v_and_b32_e32 v15, 0xffff, v91
	s_delay_alu instid0(VALU_DEP_2) | instskip(NEXT) | instid1(VALU_DEP_2)
	v_add_nc_u32_e32 v14, 0, v14
	v_mad_u32_u24 v15, 0x240, v15, 0
	s_delay_alu instid0(VALU_DEP_2) | instskip(NEXT) | instid1(VALU_DEP_2)
	v_add3_u32 v3, v14, v3, v18
	v_add3_u32 v7, v15, v7, v18
	v_fma_f64 v[69:70], v[39:40], 0.5, v[69:70]
	v_fma_f64 v[75:76], v[39:40], s[4:5], v[75:76]
	v_fma_f64 v[73:74], v[45:46], -0.5, v[73:74]
	v_fma_f64 v[79:80], v[45:46], s[4:5], v[51:52]
	v_add_f64_e32 v[10:11], v[53:54], v[19:20]
	v_add_f64_e64 v[19:20], v[53:54], -v[19:20]
	v_add_f64_e32 v[31:32], v[43:44], v[59:60]
	v_add_f64_e32 v[33:34], v[49:50], v[55:56]
	v_add_f64_e64 v[39:40], v[43:44], -v[59:60]
	v_add_f64_e64 v[41:42], v[49:50], -v[55:56]
	v_add_f64_e32 v[35:36], v[47:48], v[61:62]
	v_add_f64_e32 v[37:38], v[57:58], v[63:64]
	v_add_f64_e64 v[43:44], v[47:48], -v[61:62]
	v_add_f64_e64 v[45:46], v[57:58], -v[63:64]
	v_mul_u32_u24_e32 v63, 3, v6
	s_delay_alu instid0(VALU_DEP_1)
	v_lshlrev_b32_e32 v63, 4, v63
	v_add_f64_e32 v[47:48], v[67:68], v[69:70]
	v_add_f64_e32 v[49:50], v[71:72], v[75:76]
	;; [unrolled: 1-line block ×4, first 2 shown]
	v_add_f64_e64 v[55:56], v[67:68], -v[69:70]
	v_add_f64_e64 v[57:58], v[71:72], -v[75:76]
	;; [unrolled: 1-line block ×4, first 2 shown]
	ds_store_b128 v3, v[10:13]
	ds_store_b128 v3, v[31:34] offset:96
	ds_store_b128 v3, v[35:38] offset:192
	;; [unrolled: 1-line block ×5, first 2 shown]
	ds_store_b128 v7, v[23:26]
	ds_store_b128 v7, v[47:50] offset:96
	ds_store_b128 v7, v[51:54] offset:192
	;; [unrolled: 1-line block ×5, first 2 shown]
	global_wb scope:SCOPE_SE
	s_wait_dscnt 0x0
	s_barrier_signal -1
	s_barrier_wait -1
	global_inv scope:SCOPE_SE
	s_clause 0x8
	global_load_b128 v[10:13], v63, s[8:9] offset:480
	global_load_b128 v[18:21], v63, s[8:9] offset:496
	;; [unrolled: 1-line block ×9, first 2 shown]
	ds_load_b128 v[50:53], v2 offset:576
	ds_load_b128 v[54:57], v2 offset:1152
	;; [unrolled: 1-line block ×3, first 2 shown]
	v_add_nc_u32_e32 v3, 0x800, v0
	ds_load_b128 v[62:65], v2 offset:1536
	s_wait_loadcnt_dscnt 0x803
	v_mul_f64_e32 v[82:83], v[52:53], v[12:13]
	v_mul_f64_e32 v[84:85], v[50:51], v[12:13]
	s_wait_loadcnt_dscnt 0x702
	v_mul_f64_e32 v[86:87], v[56:57], v[20:21]
	v_mul_f64_e32 v[20:21], v[54:55], v[20:21]
	;; [unrolled: 3-line block ×3, first 2 shown]
	ds_load_b128 v[12:15], v2 offset:1344
	ds_load_b128 v[66:69], v2 offset:768
	ds_load_b128 v[70:73], v2 offset:1920
	ds_load_b128 v[74:77], v2 offset:960
	ds_load_b128 v[78:81], v2 offset:2112
	v_fma_f64 v[50:51], v[50:51], v[10:11], v[82:83]
	v_fma_f64 v[52:53], v[52:53], v[10:11], -v[84:85]
	s_wait_loadcnt_dscnt 0x503
	v_mul_f64_e32 v[10:11], v[68:69], v[28:29]
	v_mul_f64_e32 v[28:29], v[66:67], v[28:29]
	s_wait_loadcnt 0x4
	v_mul_f64_e32 v[82:83], v[14:15], v[32:33]
	v_mul_f64_e32 v[32:33], v[12:13], v[32:33]
	v_fma_f64 v[54:55], v[54:55], v[18:19], v[86:87]
	v_fma_f64 v[56:57], v[56:57], v[18:19], -v[20:21]
	s_wait_loadcnt_dscnt 0x302
	v_mul_f64_e32 v[18:19], v[72:73], v[36:37]
	v_mul_f64_e32 v[20:21], v[70:71], v[36:37]
	s_wait_loadcnt_dscnt 0x201
	v_mul_f64_e32 v[36:37], v[76:77], v[40:41]
	v_mul_f64_e32 v[40:41], v[74:75], v[40:41]
	v_fma_f64 v[58:59], v[58:59], v[22:23], v[88:89]
	v_fma_f64 v[60:61], v[60:61], v[22:23], -v[24:25]
	s_wait_loadcnt 0x1
	v_mul_f64_e32 v[22:23], v[64:65], v[44:45]
	v_mul_f64_e32 v[24:25], v[62:63], v[44:45]
	s_wait_loadcnt_dscnt 0x0
	v_mul_f64_e32 v[44:45], v[80:81], v[48:49]
	v_mul_f64_e32 v[48:49], v[78:79], v[48:49]
	v_fma_f64 v[66:67], v[66:67], v[26:27], v[10:11]
	v_fma_f64 v[26:27], v[68:69], v[26:27], -v[28:29]
	v_fma_f64 v[28:29], v[12:13], v[30:31], v[82:83]
	v_fma_f64 v[14:15], v[14:15], v[30:31], -v[32:33]
	;; [unrolled: 2-line block ×6, first 2 shown]
	ds_load_b128 v[10:13], v17
	ds_load_b128 v[17:20], v0 offset:192
	ds_load_b128 v[21:24], v0 offset:384
	global_wb scope:SCOPE_SE
	s_wait_dscnt 0x0
	s_barrier_signal -1
	s_barrier_wait -1
	global_inv scope:SCOPE_SE
	v_add_f64_e64 v[46:47], v[10:11], -v[54:55]
	v_add_f64_e64 v[48:49], v[12:13], -v[56:57]
	;; [unrolled: 1-line block ×12, first 2 shown]
	v_fma_f64 v[58:59], v[10:11], 2.0, -v[46:47]
	v_fma_f64 v[60:61], v[12:13], 2.0, -v[48:49]
	v_fma_f64 v[50:51], v[50:51], 2.0, -v[54:55]
	v_fma_f64 v[52:53], v[52:53], 2.0, -v[56:57]
	v_add_f64_e32 v[10:11], v[46:47], v[56:57]
	v_add_f64_e64 v[12:13], v[48:49], -v[54:55]
	v_fma_f64 v[62:63], v[17:18], 2.0, -v[28:29]
	v_fma_f64 v[64:65], v[19:20], 2.0, -v[14:15]
	v_fma_f64 v[66:67], v[66:67], 2.0, -v[30:31]
	v_fma_f64 v[25:26], v[26:27], 2.0, -v[32:33]
	v_add_f64_e32 v[54:55], v[28:29], v[32:33]
	v_add_f64_e64 v[56:57], v[14:15], -v[30:31]
	;; [unrolled: 6-line block ×3, first 2 shown]
	v_add_f64_e64 v[17:18], v[58:59], -v[50:51]
	v_add_f64_e64 v[19:20], v[60:61], -v[52:53]
	;; [unrolled: 1-line block ×4, first 2 shown]
	v_fma_f64 v[14:15], v[14:15], 2.0, -v[56:57]
	v_add_f64_e64 v[66:67], v[68:69], -v[21:22]
	v_add_f64_e64 v[72:73], v[70:71], -v[23:24]
	v_fma_f64 v[21:22], v[46:47], 2.0, -v[10:11]
	v_fma_f64 v[46:47], v[28:29], 2.0, -v[54:55]
	v_fma_f64 v[23:24], v[48:49], 2.0, -v[12:13]
	v_fma_f64 v[37:38], v[38:39], 2.0, -v[44:45]
	v_fma_f64 v[39:40], v[40:41], 2.0, -v[42:43]
	v_fma_f64 v[25:26], v[58:59], 2.0, -v[17:18]
	v_fma_f64 v[27:28], v[60:61], 2.0, -v[19:20]
	v_fma_f64 v[29:30], v[62:63], 2.0, -v[50:51]
	v_fma_f64 v[31:32], v[64:65], 2.0, -v[52:53]
	v_fma_f64 v[33:34], v[68:69], 2.0, -v[66:67]
	v_fma_f64 v[35:36], v[70:71], 2.0, -v[72:73]
	ds_store_b128 v2, v[17:20] offset:1152
	ds_store_b128 v2, v[10:13] offset:1728
	ds_store_b128 v2, v[25:28]
	ds_store_b128 v2, v[21:24] offset:576
	ds_store_b128 v0, v[29:32] offset:192
	ds_store_2addr_b64 v0, v[46:47], v[14:15] offset0:96 offset1:97
	ds_store_2addr_b64 v0, v[50:51], v[52:53] offset0:168 offset1:169
	;; [unrolled: 1-line block ×3, first 2 shown]
	ds_store_b128 v0, v[33:36] offset:384
	ds_store_2addr_b64 v0, v[37:38], v[39:40] offset0:120 offset1:121
	ds_store_2addr_b64 v0, v[66:67], v[72:73] offset0:192 offset1:193
	;; [unrolled: 1-line block ×3, first 2 shown]
	global_wb scope:SCOPE_SE
	s_wait_dscnt 0x0
	s_barrier_signal -1
	s_barrier_wait -1
	global_inv scope:SCOPE_SE
	s_and_saveexec_b32 s0, vcc_lo
	s_cbranch_execz .LBB0_20
; %bb.19:
	v_mul_lo_u32 v0, s3, v8
	v_mul_lo_u32 v7, s2, v9
	v_mad_co_u64_u32 v[2:3], null, s2, v8, 0
	v_lshl_add_u32 v37, v6, 4, v16
	v_lshlrev_b64_e32 v[11:12], 4, v[4:5]
	s_delay_alu instid0(VALU_DEP_3) | instskip(SKIP_1) | instid1(VALU_DEP_2)
	v_add3_u32 v3, v3, v7, v0
	v_dual_mov_b32 v7, v1 :: v_dual_add_nc_u32 v0, 12, v6
	v_lshlrev_b64_e32 v[13:14], 4, v[2:3]
	s_delay_alu instid0(VALU_DEP_2)
	v_lshlrev_b64_e32 v[15:16], 4, v[6:7]
	ds_load_b128 v[2:5], v37
	ds_load_b128 v[7:10], v37 offset:192
	v_add_co_u32 v17, vcc_lo, s6, v13
	s_wait_alu 0xfffd
	v_add_co_ci_u32_e32 v18, vcc_lo, s7, v14, vcc_lo
	v_lshlrev_b64_e32 v[13:14], 4, v[0:1]
	s_delay_alu instid0(VALU_DEP_3) | instskip(SKIP_1) | instid1(VALU_DEP_3)
	v_add_co_u32 v38, vcc_lo, v17, v11
	s_wait_alu 0xfffd
	v_add_co_ci_u32_e32 v39, vcc_lo, v18, v12, vcc_lo
	v_add_nc_u32_e32 v0, 24, v6
	s_delay_alu instid0(VALU_DEP_3) | instskip(SKIP_1) | instid1(VALU_DEP_3)
	v_add_co_u32 v11, vcc_lo, v38, v15
	s_wait_alu 0xfffd
	v_add_co_ci_u32_e32 v12, vcc_lo, v39, v16, vcc_lo
	s_delay_alu instid0(VALU_DEP_3) | instskip(SKIP_4) | instid1(VALU_DEP_4)
	v_lshlrev_b64_e32 v[15:16], 4, v[0:1]
	v_add_co_u32 v13, vcc_lo, v38, v13
	s_wait_alu 0xfffd
	v_add_co_ci_u32_e32 v14, vcc_lo, v39, v14, vcc_lo
	v_add_nc_u32_e32 v0, 36, v6
	v_add_co_u32 v21, vcc_lo, v38, v15
	s_wait_dscnt 0x1
	global_store_b128 v[11:12], v[2:5], off
	s_wait_dscnt 0x0
	global_store_b128 v[13:14], v[7:10], off
	s_wait_alu 0xfffd
	v_add_co_ci_u32_e32 v22, vcc_lo, v39, v16, vcc_lo
	v_lshlrev_b64_e32 v[19:20], 4, v[0:1]
	v_add_nc_u32_e32 v0, 48, v6
	ds_load_b128 v[2:5], v37 offset:384
	ds_load_b128 v[7:10], v37 offset:576
	;; [unrolled: 1-line block ×4, first 2 shown]
	v_lshlrev_b64_e32 v[23:24], 4, v[0:1]
	v_add_nc_u32_e32 v0, 60, v6
	v_add_co_u32 v19, vcc_lo, v38, v19
	s_wait_alu 0xfffd
	v_add_co_ci_u32_e32 v20, vcc_lo, v39, v20, vcc_lo
	s_delay_alu instid0(VALU_DEP_3) | instskip(SKIP_4) | instid1(VALU_DEP_3)
	v_lshlrev_b64_e32 v[25:26], 4, v[0:1]
	v_add_nc_u32_e32 v0, 0x48, v6
	v_add_co_u32 v23, vcc_lo, v38, v23
	s_wait_alu 0xfffd
	v_add_co_ci_u32_e32 v24, vcc_lo, v39, v24, vcc_lo
	v_lshlrev_b64_e32 v[27:28], 4, v[0:1]
	v_add_nc_u32_e32 v0, 0x54, v6
	v_add_co_u32 v25, vcc_lo, v38, v25
	s_wait_alu 0xfffd
	v_add_co_ci_u32_e32 v26, vcc_lo, v39, v26, vcc_lo
	s_wait_dscnt 0x3
	global_store_b128 v[21:22], v[2:5], off
	s_wait_dscnt 0x2
	global_store_b128 v[19:20], v[7:10], off
	;; [unrolled: 2-line block ×4, first 2 shown]
	v_lshlrev_b64_e32 v[11:12], 4, v[0:1]
	v_add_nc_u32_e32 v0, 0x60, v6
	v_add_co_u32 v27, vcc_lo, v38, v27
	s_wait_alu 0xfffd
	v_add_co_ci_u32_e32 v28, vcc_lo, v39, v28, vcc_lo
	s_delay_alu instid0(VALU_DEP_3) | instskip(SKIP_4) | instid1(VALU_DEP_4)
	v_lshlrev_b64_e32 v[13:14], 4, v[0:1]
	v_add_co_u32 v29, vcc_lo, v38, v11
	v_add_nc_u32_e32 v0, 0x6c, v6
	s_wait_alu 0xfffd
	v_add_co_ci_u32_e32 v30, vcc_lo, v39, v12, vcc_lo
	v_add_co_u32 v33, vcc_lo, v38, v13
	ds_load_b128 v[2:5], v37 offset:1152
	ds_load_b128 v[7:10], v37 offset:1344
	s_wait_alu 0xfffd
	v_add_co_ci_u32_e32 v34, vcc_lo, v39, v14, vcc_lo
	ds_load_b128 v[11:14], v37 offset:1536
	ds_load_b128 v[15:18], v37 offset:1728
	;; [unrolled: 1-line block ×4, first 2 shown]
	v_lshlrev_b64_e32 v[31:32], 4, v[0:1]
	v_add_nc_u32_e32 v0, 0x78, v6
	s_delay_alu instid0(VALU_DEP_1) | instskip(SKIP_1) | instid1(VALU_DEP_4)
	v_lshlrev_b64_e32 v[35:36], 4, v[0:1]
	v_add_nc_u32_e32 v0, 0x84, v6
	v_add_co_u32 v31, vcc_lo, v38, v31
	s_wait_alu 0xfffd
	v_add_co_ci_u32_e32 v32, vcc_lo, v39, v32, vcc_lo
	s_delay_alu instid0(VALU_DEP_3) | instskip(SKIP_3) | instid1(VALU_DEP_3)
	v_lshlrev_b64_e32 v[0:1], 4, v[0:1]
	v_add_co_u32 v35, vcc_lo, v38, v35
	s_wait_alu 0xfffd
	v_add_co_ci_u32_e32 v36, vcc_lo, v39, v36, vcc_lo
	v_add_co_u32 v0, vcc_lo, v38, v0
	s_wait_alu 0xfffd
	v_add_co_ci_u32_e32 v1, vcc_lo, v39, v1, vcc_lo
	s_wait_dscnt 0x5
	global_store_b128 v[27:28], v[2:5], off
	s_wait_dscnt 0x4
	global_store_b128 v[29:30], v[7:10], off
	;; [unrolled: 2-line block ×6, first 2 shown]
.LBB0_20:
	s_nop 0
	s_sendmsg sendmsg(MSG_DEALLOC_VGPRS)
	s_endpgm
	.section	.rodata,"a",@progbits
	.p2align	6, 0x0
	.amdhsa_kernel fft_rtc_back_len144_factors_6_6_4_wgs_120_tpt_12_halfLds_dp_op_CI_CI_unitstride_sbrr_C2R_dirReg
		.amdhsa_group_segment_fixed_size 0
		.amdhsa_private_segment_fixed_size 0
		.amdhsa_kernarg_size 104
		.amdhsa_user_sgpr_count 2
		.amdhsa_user_sgpr_dispatch_ptr 0
		.amdhsa_user_sgpr_queue_ptr 0
		.amdhsa_user_sgpr_kernarg_segment_ptr 1
		.amdhsa_user_sgpr_dispatch_id 0
		.amdhsa_user_sgpr_private_segment_size 0
		.amdhsa_wavefront_size32 1
		.amdhsa_uses_dynamic_stack 0
		.amdhsa_enable_private_segment 0
		.amdhsa_system_sgpr_workgroup_id_x 1
		.amdhsa_system_sgpr_workgroup_id_y 0
		.amdhsa_system_sgpr_workgroup_id_z 0
		.amdhsa_system_sgpr_workgroup_info 0
		.amdhsa_system_vgpr_workitem_id 0
		.amdhsa_next_free_vgpr 92
		.amdhsa_next_free_sgpr 39
		.amdhsa_reserve_vcc 1
		.amdhsa_float_round_mode_32 0
		.amdhsa_float_round_mode_16_64 0
		.amdhsa_float_denorm_mode_32 3
		.amdhsa_float_denorm_mode_16_64 3
		.amdhsa_fp16_overflow 0
		.amdhsa_workgroup_processor_mode 1
		.amdhsa_memory_ordered 1
		.amdhsa_forward_progress 0
		.amdhsa_round_robin_scheduling 0
		.amdhsa_exception_fp_ieee_invalid_op 0
		.amdhsa_exception_fp_denorm_src 0
		.amdhsa_exception_fp_ieee_div_zero 0
		.amdhsa_exception_fp_ieee_overflow 0
		.amdhsa_exception_fp_ieee_underflow 0
		.amdhsa_exception_fp_ieee_inexact 0
		.amdhsa_exception_int_div_zero 0
	.end_amdhsa_kernel
	.text
.Lfunc_end0:
	.size	fft_rtc_back_len144_factors_6_6_4_wgs_120_tpt_12_halfLds_dp_op_CI_CI_unitstride_sbrr_C2R_dirReg, .Lfunc_end0-fft_rtc_back_len144_factors_6_6_4_wgs_120_tpt_12_halfLds_dp_op_CI_CI_unitstride_sbrr_C2R_dirReg
                                        ; -- End function
	.section	.AMDGPU.csdata,"",@progbits
; Kernel info:
; codeLenInByte = 7316
; NumSgprs: 41
; NumVgprs: 92
; ScratchSize: 0
; MemoryBound: 0
; FloatMode: 240
; IeeeMode: 1
; LDSByteSize: 0 bytes/workgroup (compile time only)
; SGPRBlocks: 5
; VGPRBlocks: 11
; NumSGPRsForWavesPerEU: 41
; NumVGPRsForWavesPerEU: 92
; Occupancy: 16
; WaveLimiterHint : 1
; COMPUTE_PGM_RSRC2:SCRATCH_EN: 0
; COMPUTE_PGM_RSRC2:USER_SGPR: 2
; COMPUTE_PGM_RSRC2:TRAP_HANDLER: 0
; COMPUTE_PGM_RSRC2:TGID_X_EN: 1
; COMPUTE_PGM_RSRC2:TGID_Y_EN: 0
; COMPUTE_PGM_RSRC2:TGID_Z_EN: 0
; COMPUTE_PGM_RSRC2:TIDIG_COMP_CNT: 0
	.text
	.p2alignl 7, 3214868480
	.fill 96, 4, 3214868480
	.type	__hip_cuid_3e6de9c5db0dd5e,@object ; @__hip_cuid_3e6de9c5db0dd5e
	.section	.bss,"aw",@nobits
	.globl	__hip_cuid_3e6de9c5db0dd5e
__hip_cuid_3e6de9c5db0dd5e:
	.byte	0                               ; 0x0
	.size	__hip_cuid_3e6de9c5db0dd5e, 1

	.ident	"AMD clang version 19.0.0git (https://github.com/RadeonOpenCompute/llvm-project roc-6.4.0 25133 c7fe45cf4b819c5991fe208aaa96edf142730f1d)"
	.section	".note.GNU-stack","",@progbits
	.addrsig
	.addrsig_sym __hip_cuid_3e6de9c5db0dd5e
	.amdgpu_metadata
---
amdhsa.kernels:
  - .args:
      - .actual_access:  read_only
        .address_space:  global
        .offset:         0
        .size:           8
        .value_kind:     global_buffer
      - .offset:         8
        .size:           8
        .value_kind:     by_value
      - .actual_access:  read_only
        .address_space:  global
        .offset:         16
        .size:           8
        .value_kind:     global_buffer
      - .actual_access:  read_only
        .address_space:  global
        .offset:         24
        .size:           8
        .value_kind:     global_buffer
      - .actual_access:  read_only
        .address_space:  global
        .offset:         32
        .size:           8
        .value_kind:     global_buffer
      - .offset:         40
        .size:           8
        .value_kind:     by_value
      - .actual_access:  read_only
        .address_space:  global
        .offset:         48
        .size:           8
        .value_kind:     global_buffer
      - .actual_access:  read_only
        .address_space:  global
        .offset:         56
        .size:           8
        .value_kind:     global_buffer
      - .offset:         64
        .size:           4
        .value_kind:     by_value
      - .actual_access:  read_only
        .address_space:  global
        .offset:         72
        .size:           8
        .value_kind:     global_buffer
      - .actual_access:  read_only
        .address_space:  global
        .offset:         80
        .size:           8
        .value_kind:     global_buffer
      - .actual_access:  read_only
        .address_space:  global
        .offset:         88
        .size:           8
        .value_kind:     global_buffer
      - .actual_access:  write_only
        .address_space:  global
        .offset:         96
        .size:           8
        .value_kind:     global_buffer
    .group_segment_fixed_size: 0
    .kernarg_segment_align: 8
    .kernarg_segment_size: 104
    .language:       OpenCL C
    .language_version:
      - 2
      - 0
    .max_flat_workgroup_size: 120
    .name:           fft_rtc_back_len144_factors_6_6_4_wgs_120_tpt_12_halfLds_dp_op_CI_CI_unitstride_sbrr_C2R_dirReg
    .private_segment_fixed_size: 0
    .sgpr_count:     41
    .sgpr_spill_count: 0
    .symbol:         fft_rtc_back_len144_factors_6_6_4_wgs_120_tpt_12_halfLds_dp_op_CI_CI_unitstride_sbrr_C2R_dirReg.kd
    .uniform_work_group_size: 1
    .uses_dynamic_stack: false
    .vgpr_count:     92
    .vgpr_spill_count: 0
    .wavefront_size: 32
    .workgroup_processor_mode: 1
amdhsa.target:   amdgcn-amd-amdhsa--gfx1201
amdhsa.version:
  - 1
  - 2
...

	.end_amdgpu_metadata
